;; amdgpu-corpus repo=zjin-lcf/HeCBench kind=compiled arch=gfx90a opt=O3
	.text
	.amdgcn_target "amdgcn-amd-amdhsa--gfx90a"
	.amdhsa_code_object_version 6
	.protected	_Z10ker_KeccakPKjPjS0_  ; -- Begin function _Z10ker_KeccakPKjPjS0_
	.globl	_Z10ker_KeccakPKjPjS0_
	.p2align	8
	.type	_Z10ker_KeccakPKjPjS0_,@function
_Z10ker_KeccakPKjPjS0_:                 ; @_Z10ker_KeccakPKjPjS0_
; %bb.0:
	s_load_dwordx4 s[0:3], s[4:5], 0x0
	s_load_dwordx2 s[8:9], s[4:5], 0x10
	v_lshl_or_b32 v1, s6, 19, v0
	s_mov_b32 s7, 0
	v_mov_b32_e32 v3, 0
	s_waitcnt lgkmcnt(0)
	v_mov_b32_e32 v4, s1
	v_mov_b32_e32 v23, 0
	;; [unrolled: 1-line block ×26, first 2 shown]
.LBB0_1:                                ; =>This Loop Header: Depth=1
                                        ;     Child Loop BB0_2 Depth 2
	v_lshl_add_u32 v2, s7, 9, v1
	v_lshlrev_b64 v[30:31], 2, v[2:3]
	v_add_co_u32_e32 v30, vcc, s0, v30
	v_add_u32_e32 v32, 64, v2
	v_mov_b32_e32 v33, v3
	v_addc_co_u32_e32 v31, vcc, v4, v31, vcc
	v_lshlrev_b64 v[32:33], 2, v[32:33]
	v_add_co_u32_e32 v32, vcc, s0, v32
	v_add_u32_e32 v34, 0x80, v2
	v_mov_b32_e32 v35, v3
	v_addc_co_u32_e32 v33, vcc, v4, v33, vcc
	;; [unrolled: 5-line block ×6, first 2 shown]
	v_lshlrev_b64 v[42:43], 2, v[42:43]
	v_add_co_u32_e32 v42, vcc, s0, v42
	v_add_u32_e32 v2, 0x1c0, v2
	v_addc_co_u32_e32 v43, vcc, v4, v43, vcc
	v_lshlrev_b64 v[44:45], 2, v[2:3]
	v_add_co_u32_e32 v44, vcc, s0, v44
	v_addc_co_u32_e32 v45, vcc, v4, v45, vcc
	global_load_dword v2, v[30:31], off
	global_load_dword v46, v[32:33], off
	;; [unrolled: 1-line block ×8, first 2 shown]
	s_mov_b64 s[4:5], 0
	s_waitcnt vmcnt(7)
	v_xor_b32_e32 v29, v29, v2
	s_waitcnt vmcnt(6)
	v_xor_b32_e32 v9, v9, v46
	s_waitcnt vmcnt(5)
	v_xor_b32_e32 v7, v7, v47
	s_waitcnt vmcnt(4)
	v_xor_b32_e32 v6, v6, v48
	s_waitcnt vmcnt(3)
	v_xor_b32_e32 v5, v5, v49
	s_waitcnt vmcnt(2)
	v_xor_b32_e32 v12, v12, v50
	s_waitcnt vmcnt(1)
	v_xor_b32_e32 v10, v10, v51
	s_waitcnt vmcnt(0)
	v_xor_b32_e32 v8, v8, v52
.LBB0_2:                                ;   Parent Loop BB0_1 Depth=1
                                        ; =>  This Inner Loop Header: Depth=2
	v_xor_b32_e32 v30, v10, v9
	v_xor_b32_e32 v30, v30, v19
	;; [unrolled: 1-line block ×14, first 2 shown]
	v_alignbit_b32 v34, v30, v30, 31
	v_xor_b32_e32 v2, v2, v25
	v_xor_b32_e32 v31, v31, v24
	v_xor_b32_e32 v32, v32, v15
	v_xor_b32_e32 v34, v33, v34
	v_xor_b32_e32 v2, v2, v28
	v_xor_b32_e32 v32, v32, v18
	v_xor_b32_e32 v29, v34, v29
	v_xor_b32_e32 v12, v34, v12
	v_xor_b32_e32 v21, v34, v21
	v_xor_b32_e32 v25, v34, v25
	v_xor_b32_e32 v28, v34, v28
	v_alignbit_b32 v34, v31, v31, 31
	v_xor_b32_e32 v32, v32, v26
	v_xor_b32_e32 v34, v34, v2
	;; [unrolled: 1-line block ×7, first 2 shown]
	v_alignbit_b32 v34, v32, v32, 31
	v_xor_b32_e32 v30, v34, v30
	v_xor_b32_e32 v7, v30, v7
	;; [unrolled: 1-line block ×6, first 2 shown]
	v_alignbit_b32 v30, v33, v33, 31
	v_alignbit_b32 v2, v2, v2, 31
	v_xor_b32_e32 v30, v30, v31
	v_xor_b32_e32 v2, v32, v2
	;; [unrolled: 1-line block ×5, first 2 shown]
	v_alignbit_b32 v10, v10, v10, 20
	v_xor_b32_e32 v13, v30, v13
	v_xor_b32_e32 v15, v30, v15
	;; [unrolled: 1-line block ×3, first 2 shown]
	v_alignbit_b32 v30, v8, v8, 26
	v_alignbit_b32 v8, v18, v18, 11
	;; [unrolled: 1-line block ×6, first 2 shown]
	v_not_b32_e32 v6, v10
	v_and_b32_e32 v39, v5, v6
	v_not_b32_e32 v6, v5
	v_xor_b32_e32 v11, v11, v2
	v_xor_b32_e32 v14, v14, v2
	;; [unrolled: 1-line block ×4, first 2 shown]
	v_and_b32_e32 v6, v8, v6
	v_alignbit_b32 v23, v9, v9, 31
	v_alignbit_b32 v2, v2, v2, 18
	v_xor_b32_e32 v9, v6, v10
	v_not_b32_e32 v6, v8
	v_and_b32_e32 v6, v2, v6
	v_alignbit_b32 v37, v7, v7, 2
	v_xor_b32_e32 v7, v6, v5
	v_not_b32_e32 v5, v2
	v_and_b32_e32 v5, v29, v5
	v_xor_b32_e32 v6, v8, v5
	v_not_b32_e32 v5, v29
	v_alignbit_b32 v11, v11, v11, 12
	v_and_b32_e32 v5, v10, v5
	v_alignbit_b32 v21, v21, v21, 29
	v_xor_b32_e32 v5, v5, v2
	v_not_b32_e32 v2, v11
	v_and_b32_e32 v2, v21, v2
	v_alignbit_b32 v31, v19, v19, 22
	v_alignbit_b32 v33, v12, v12, 28
	;; [unrolled: 1-line block ×3, first 2 shown]
	v_xor_b32_e32 v12, v18, v2
	v_not_b32_e32 v2, v21
	v_and_b32_e32 v2, v19, v2
	v_alignbit_b32 v38, v14, v14, 25
	v_alignbit_b32 v14, v24, v24, 3
	v_xor_b32_e32 v10, v2, v11
	v_not_b32_e32 v2, v19
	v_and_b32_e32 v2, v14, v2
	v_xor_b32_e32 v8, v21, v2
	v_not_b32_e32 v2, v14
	v_and_b32_e32 v2, v18, v2
	v_alignbit_b32 v34, v13, v13, 9
	v_xor_b32_e32 v13, v2, v19
	v_not_b32_e32 v2, v18
	v_and_b32_e32 v2, v11, v2
	v_alignbit_b32 v15, v15, v15, 7
	;; [unrolled: 4-line block ×4, first 2 shown]
	v_alignbit_b32 v20, v28, v28, 14
	v_xor_b32_e32 v19, v2, v30
	v_not_b32_e32 v2, v16
	v_and_b32_e32 v2, v20, v2
	v_xor_b32_e32 v17, v15, v2
	v_not_b32_e32 v2, v20
	v_and_b32_e32 v2, v23, v2
	;; [unrolled: 3-line block ×4, first 2 shown]
	v_alignbit_b32 v36, v25, v25, 23
	v_xor_b32_e32 v25, v2, v27
	v_not_b32_e32 v2, v31
	v_and_b32_e32 v2, v32, v2
	v_alignbit_b32 v26, v26, v26, 8
	v_xor_b32_e32 v22, v33, v2
	v_not_b32_e32 v2, v32
	v_and_b32_e32 v2, v26, v2
	v_xor_b32_e32 v20, v2, v31
	v_not_b32_e32 v2, v26
	v_and_b32_e32 v2, v27, v2
	;; [unrolled: 3-line block ×5, first 2 shown]
	s_add_u32 s10, s8, s4
	v_xor_b32_e32 v27, v34, v2
	v_not_b32_e32 v2, v36
	s_addc_u32 s11, s9, s5
	v_and_b32_e32 v2, v35, v2
	s_load_dword s1, s[10:11], 0x0
	v_xor_b32_e32 v24, v2, v38
	v_not_b32_e32 v2, v35
	v_and_b32_e32 v2, v37, v2
	v_xor_b32_e32 v26, v36, v2
	v_not_b32_e32 v2, v37
	v_and_b32_e32 v2, v34, v2
	s_add_u32 s4, s4, 4
	v_xor_b32_e32 v23, v2, v35
	s_waitcnt lgkmcnt(0)
	v_xor_b32_e32 v2, s1, v39
	s_addc_u32 s5, s5, 0
	s_cmpk_lg_i32 s4, 0x58
	v_xor_b32_e32 v29, v2, v29
	s_cbranch_scc1 .LBB0_2
; %bb.3:                                ;   in Loop: Header=BB0_1 Depth=1
	s_add_i32 s7, s7, 1
	s_cmpk_eq_i32 s7, 0x400
	s_cbranch_scc0 .LBB0_1
; %bb.4:
	s_lshl_b32 s0, s6, 9
	s_and_b32 s0, s0, 0x3ffffe00
	v_add_u32_e32 v0, s0, v0
	v_mov_b32_e32 v1, 0
	v_lshlrev_b64 v[0:1], 2, v[0:1]
	v_mov_b32_e32 v2, s3
	v_add_co_u32_e32 v0, vcc, s2, v0
	v_addc_co_u32_e32 v1, vcc, v2, v1, vcc
	global_store_dword v[0:1], v29, off
	global_store_dword v[0:1], v9, off offset:256
	global_store_dword v[0:1], v7, off offset:512
	;; [unrolled: 1-line block ×7, first 2 shown]
	s_endpgm
	.section	.rodata,"a",@progbits
	.p2align	6, 0x0
	.amdhsa_kernel _Z10ker_KeccakPKjPjS0_
		.amdhsa_group_segment_fixed_size 0
		.amdhsa_private_segment_fixed_size 0
		.amdhsa_kernarg_size 24
		.amdhsa_user_sgpr_count 6
		.amdhsa_user_sgpr_private_segment_buffer 1
		.amdhsa_user_sgpr_dispatch_ptr 0
		.amdhsa_user_sgpr_queue_ptr 0
		.amdhsa_user_sgpr_kernarg_segment_ptr 1
		.amdhsa_user_sgpr_dispatch_id 0
		.amdhsa_user_sgpr_flat_scratch_init 0
		.amdhsa_user_sgpr_kernarg_preload_length 0
		.amdhsa_user_sgpr_kernarg_preload_offset 0
		.amdhsa_user_sgpr_private_segment_size 0
		.amdhsa_uses_dynamic_stack 0
		.amdhsa_system_sgpr_private_segment_wavefront_offset 0
		.amdhsa_system_sgpr_workgroup_id_x 1
		.amdhsa_system_sgpr_workgroup_id_y 0
		.amdhsa_system_sgpr_workgroup_id_z 0
		.amdhsa_system_sgpr_workgroup_info 0
		.amdhsa_system_vgpr_workitem_id 0
		.amdhsa_next_free_vgpr 53
		.amdhsa_next_free_sgpr 12
		.amdhsa_accum_offset 56
		.amdhsa_reserve_vcc 1
		.amdhsa_reserve_flat_scratch 0
		.amdhsa_float_round_mode_32 0
		.amdhsa_float_round_mode_16_64 0
		.amdhsa_float_denorm_mode_32 3
		.amdhsa_float_denorm_mode_16_64 3
		.amdhsa_dx10_clamp 1
		.amdhsa_ieee_mode 1
		.amdhsa_fp16_overflow 0
		.amdhsa_tg_split 0
		.amdhsa_exception_fp_ieee_invalid_op 0
		.amdhsa_exception_fp_denorm_src 0
		.amdhsa_exception_fp_ieee_div_zero 0
		.amdhsa_exception_fp_ieee_overflow 0
		.amdhsa_exception_fp_ieee_underflow 0
		.amdhsa_exception_fp_ieee_inexact 0
		.amdhsa_exception_int_div_zero 0
	.end_amdhsa_kernel
	.text
.Lfunc_end0:
	.size	_Z10ker_KeccakPKjPjS0_, .Lfunc_end0-_Z10ker_KeccakPKjPjS0_
                                        ; -- End function
	.section	.AMDGPU.csdata,"",@progbits
; Kernel info:
; codeLenInByte = 1376
; NumSgprs: 16
; NumVgprs: 53
; NumAgprs: 0
; TotalNumVgprs: 53
; ScratchSize: 0
; MemoryBound: 0
; FloatMode: 240
; IeeeMode: 1
; LDSByteSize: 0 bytes/workgroup (compile time only)
; SGPRBlocks: 1
; VGPRBlocks: 6
; NumSGPRsForWavesPerEU: 16
; NumVGPRsForWavesPerEU: 53
; AccumOffset: 56
; Occupancy: 8
; WaveLimiterHint : 1
; COMPUTE_PGM_RSRC2:SCRATCH_EN: 0
; COMPUTE_PGM_RSRC2:USER_SGPR: 6
; COMPUTE_PGM_RSRC2:TRAP_HANDLER: 0
; COMPUTE_PGM_RSRC2:TGID_X_EN: 1
; COMPUTE_PGM_RSRC2:TGID_Y_EN: 0
; COMPUTE_PGM_RSRC2:TGID_Z_EN: 0
; COMPUTE_PGM_RSRC2:TIDIG_COMP_CNT: 0
; COMPUTE_PGM_RSRC3_GFX90A:ACCUM_OFFSET: 13
; COMPUTE_PGM_RSRC3_GFX90A:TG_SPLIT: 0
	.text
	.p2alignl 6, 3212836864
	.fill 256, 4, 3212836864
	.type	__hip_cuid_429b5c13fbfc75b5,@object ; @__hip_cuid_429b5c13fbfc75b5
	.section	.bss,"aw",@nobits
	.globl	__hip_cuid_429b5c13fbfc75b5
__hip_cuid_429b5c13fbfc75b5:
	.byte	0                               ; 0x0
	.size	__hip_cuid_429b5c13fbfc75b5, 1

	.ident	"AMD clang version 19.0.0git (https://github.com/RadeonOpenCompute/llvm-project roc-6.4.0 25133 c7fe45cf4b819c5991fe208aaa96edf142730f1d)"
	.section	".note.GNU-stack","",@progbits
	.addrsig
	.addrsig_sym __hip_cuid_429b5c13fbfc75b5
	.amdgpu_metadata
---
amdhsa.kernels:
  - .agpr_count:     0
    .args:
      - .actual_access:  read_only
        .address_space:  global
        .offset:         0
        .size:           8
        .value_kind:     global_buffer
      - .actual_access:  write_only
        .address_space:  global
        .offset:         8
        .size:           8
        .value_kind:     global_buffer
      - .actual_access:  read_only
        .address_space:  global
        .offset:         16
        .size:           8
        .value_kind:     global_buffer
    .group_segment_fixed_size: 0
    .kernarg_segment_align: 8
    .kernarg_segment_size: 24
    .language:       OpenCL C
    .language_version:
      - 2
      - 0
    .max_flat_workgroup_size: 1024
    .name:           _Z10ker_KeccakPKjPjS0_
    .private_segment_fixed_size: 0
    .sgpr_count:     16
    .sgpr_spill_count: 0
    .symbol:         _Z10ker_KeccakPKjPjS0_.kd
    .uniform_work_group_size: 1
    .uses_dynamic_stack: false
    .vgpr_count:     53
    .vgpr_spill_count: 0
    .wavefront_size: 64
amdhsa.target:   amdgcn-amd-amdhsa--gfx90a
amdhsa.version:
  - 1
  - 2
...

	.end_amdgpu_metadata
